;; amdgpu-corpus repo=ROCm/rocFFT kind=compiled arch=gfx1030 opt=O3
	.text
	.amdgcn_target "amdgcn-amd-amdhsa--gfx1030"
	.amdhsa_code_object_version 6
	.protected	fft_rtc_fwd_len1152_factors_4_3_8_3_4_wgs_144_tpt_144_halfLds_dp_ip_CI_unitstride_sbrr_C2R_dirReg ; -- Begin function fft_rtc_fwd_len1152_factors_4_3_8_3_4_wgs_144_tpt_144_halfLds_dp_ip_CI_unitstride_sbrr_C2R_dirReg
	.globl	fft_rtc_fwd_len1152_factors_4_3_8_3_4_wgs_144_tpt_144_halfLds_dp_ip_CI_unitstride_sbrr_C2R_dirReg
	.p2align	8
	.type	fft_rtc_fwd_len1152_factors_4_3_8_3_4_wgs_144_tpt_144_halfLds_dp_ip_CI_unitstride_sbrr_C2R_dirReg,@function
fft_rtc_fwd_len1152_factors_4_3_8_3_4_wgs_144_tpt_144_halfLds_dp_ip_CI_unitstride_sbrr_C2R_dirReg: ; @fft_rtc_fwd_len1152_factors_4_3_8_3_4_wgs_144_tpt_144_halfLds_dp_ip_CI_unitstride_sbrr_C2R_dirReg
; %bb.0:
	s_clause 0x2
	s_load_dwordx4 s[8:11], s[4:5], 0x0
	s_load_dwordx2 s[2:3], s[4:5], 0x50
	s_load_dwordx2 s[12:13], s[4:5], 0x18
	v_mul_u32_u24_e32 v1, 0x1c8, v0
	v_mov_b32_e32 v3, 0
	v_add_nc_u32_sdwa v5, s6, v1 dst_sel:DWORD dst_unused:UNUSED_PAD src0_sel:DWORD src1_sel:WORD_1
	v_mov_b32_e32 v1, 0
	v_mov_b32_e32 v6, v3
	v_mov_b32_e32 v2, 0
	s_waitcnt lgkmcnt(0)
	v_cmp_lt_u64_e64 s0, s[10:11], 2
	s_and_b32 vcc_lo, exec_lo, s0
	s_cbranch_vccnz .LBB0_8
; %bb.1:
	s_load_dwordx2 s[0:1], s[4:5], 0x10
	v_mov_b32_e32 v1, 0
	s_add_u32 s6, s12, 8
	v_mov_b32_e32 v2, 0
	s_addc_u32 s7, s13, 0
	s_mov_b64 s[16:17], 1
	s_waitcnt lgkmcnt(0)
	s_add_u32 s14, s0, 8
	s_addc_u32 s15, s1, 0
.LBB0_2:                                ; =>This Inner Loop Header: Depth=1
	s_load_dwordx2 s[18:19], s[14:15], 0x0
                                        ; implicit-def: $vgpr7_vgpr8
	s_mov_b32 s0, exec_lo
	s_waitcnt lgkmcnt(0)
	v_or_b32_e32 v4, s19, v6
	v_cmpx_ne_u64_e32 0, v[3:4]
	s_xor_b32 s1, exec_lo, s0
	s_cbranch_execz .LBB0_4
; %bb.3:                                ;   in Loop: Header=BB0_2 Depth=1
	v_cvt_f32_u32_e32 v4, s18
	v_cvt_f32_u32_e32 v7, s19
	s_sub_u32 s0, 0, s18
	s_subb_u32 s20, 0, s19
	v_fmac_f32_e32 v4, 0x4f800000, v7
	v_rcp_f32_e32 v4, v4
	v_mul_f32_e32 v4, 0x5f7ffffc, v4
	v_mul_f32_e32 v7, 0x2f800000, v4
	v_trunc_f32_e32 v7, v7
	v_fmac_f32_e32 v4, 0xcf800000, v7
	v_cvt_u32_f32_e32 v7, v7
	v_cvt_u32_f32_e32 v4, v4
	v_mul_lo_u32 v8, s0, v7
	v_mul_hi_u32 v9, s0, v4
	v_mul_lo_u32 v10, s20, v4
	v_add_nc_u32_e32 v8, v9, v8
	v_mul_lo_u32 v9, s0, v4
	v_add_nc_u32_e32 v8, v8, v10
	v_mul_hi_u32 v10, v4, v9
	v_mul_lo_u32 v11, v4, v8
	v_mul_hi_u32 v12, v4, v8
	v_mul_hi_u32 v13, v7, v9
	v_mul_lo_u32 v9, v7, v9
	v_mul_hi_u32 v14, v7, v8
	v_mul_lo_u32 v8, v7, v8
	v_add_co_u32 v10, vcc_lo, v10, v11
	v_add_co_ci_u32_e32 v11, vcc_lo, 0, v12, vcc_lo
	v_add_co_u32 v9, vcc_lo, v10, v9
	v_add_co_ci_u32_e32 v9, vcc_lo, v11, v13, vcc_lo
	v_add_co_ci_u32_e32 v10, vcc_lo, 0, v14, vcc_lo
	v_add_co_u32 v8, vcc_lo, v9, v8
	v_add_co_ci_u32_e32 v9, vcc_lo, 0, v10, vcc_lo
	v_add_co_u32 v4, vcc_lo, v4, v8
	v_add_co_ci_u32_e32 v7, vcc_lo, v7, v9, vcc_lo
	v_mul_hi_u32 v8, s0, v4
	v_mul_lo_u32 v10, s20, v4
	v_mul_lo_u32 v9, s0, v7
	v_add_nc_u32_e32 v8, v8, v9
	v_mul_lo_u32 v9, s0, v4
	v_add_nc_u32_e32 v8, v8, v10
	v_mul_hi_u32 v10, v4, v9
	v_mul_lo_u32 v11, v4, v8
	v_mul_hi_u32 v12, v4, v8
	v_mul_hi_u32 v13, v7, v9
	v_mul_lo_u32 v9, v7, v9
	v_mul_hi_u32 v14, v7, v8
	v_mul_lo_u32 v8, v7, v8
	v_add_co_u32 v10, vcc_lo, v10, v11
	v_add_co_ci_u32_e32 v11, vcc_lo, 0, v12, vcc_lo
	v_add_co_u32 v9, vcc_lo, v10, v9
	v_add_co_ci_u32_e32 v9, vcc_lo, v11, v13, vcc_lo
	v_add_co_ci_u32_e32 v10, vcc_lo, 0, v14, vcc_lo
	v_add_co_u32 v8, vcc_lo, v9, v8
	v_add_co_ci_u32_e32 v9, vcc_lo, 0, v10, vcc_lo
	v_add_co_u32 v4, vcc_lo, v4, v8
	v_add_co_ci_u32_e32 v11, vcc_lo, v7, v9, vcc_lo
	v_mul_hi_u32 v13, v5, v4
	v_mad_u64_u32 v[9:10], null, v6, v4, 0
	v_mad_u64_u32 v[7:8], null, v5, v11, 0
	;; [unrolled: 1-line block ×3, first 2 shown]
	v_add_co_u32 v4, vcc_lo, v13, v7
	v_add_co_ci_u32_e32 v7, vcc_lo, 0, v8, vcc_lo
	v_add_co_u32 v4, vcc_lo, v4, v9
	v_add_co_ci_u32_e32 v4, vcc_lo, v7, v10, vcc_lo
	v_add_co_ci_u32_e32 v7, vcc_lo, 0, v12, vcc_lo
	v_add_co_u32 v4, vcc_lo, v4, v11
	v_add_co_ci_u32_e32 v9, vcc_lo, 0, v7, vcc_lo
	v_mul_lo_u32 v10, s19, v4
	v_mad_u64_u32 v[7:8], null, s18, v4, 0
	v_mul_lo_u32 v11, s18, v9
	v_sub_co_u32 v7, vcc_lo, v5, v7
	v_add3_u32 v8, v8, v11, v10
	v_sub_nc_u32_e32 v10, v6, v8
	v_subrev_co_ci_u32_e64 v10, s0, s19, v10, vcc_lo
	v_add_co_u32 v11, s0, v4, 2
	v_add_co_ci_u32_e64 v12, s0, 0, v9, s0
	v_sub_co_u32 v13, s0, v7, s18
	v_sub_co_ci_u32_e32 v8, vcc_lo, v6, v8, vcc_lo
	v_subrev_co_ci_u32_e64 v10, s0, 0, v10, s0
	v_cmp_le_u32_e32 vcc_lo, s18, v13
	v_cmp_eq_u32_e64 s0, s19, v8
	v_cndmask_b32_e64 v13, 0, -1, vcc_lo
	v_cmp_le_u32_e32 vcc_lo, s19, v10
	v_cndmask_b32_e64 v14, 0, -1, vcc_lo
	v_cmp_le_u32_e32 vcc_lo, s18, v7
	;; [unrolled: 2-line block ×3, first 2 shown]
	v_cndmask_b32_e64 v15, 0, -1, vcc_lo
	v_cmp_eq_u32_e32 vcc_lo, s19, v10
	v_cndmask_b32_e64 v7, v15, v7, s0
	v_cndmask_b32_e32 v10, v14, v13, vcc_lo
	v_add_co_u32 v13, vcc_lo, v4, 1
	v_add_co_ci_u32_e32 v14, vcc_lo, 0, v9, vcc_lo
	v_cmp_ne_u32_e32 vcc_lo, 0, v10
	v_cndmask_b32_e32 v8, v14, v12, vcc_lo
	v_cndmask_b32_e32 v10, v13, v11, vcc_lo
	v_cmp_ne_u32_e32 vcc_lo, 0, v7
	v_cndmask_b32_e32 v8, v9, v8, vcc_lo
	v_cndmask_b32_e32 v7, v4, v10, vcc_lo
.LBB0_4:                                ;   in Loop: Header=BB0_2 Depth=1
	s_andn2_saveexec_b32 s0, s1
	s_cbranch_execz .LBB0_6
; %bb.5:                                ;   in Loop: Header=BB0_2 Depth=1
	v_cvt_f32_u32_e32 v4, s18
	s_sub_i32 s1, 0, s18
	v_rcp_iflag_f32_e32 v4, v4
	v_mul_f32_e32 v4, 0x4f7ffffe, v4
	v_cvt_u32_f32_e32 v4, v4
	v_mul_lo_u32 v7, s1, v4
	v_mul_hi_u32 v7, v4, v7
	v_add_nc_u32_e32 v4, v4, v7
	v_mul_hi_u32 v4, v5, v4
	v_mul_lo_u32 v7, v4, s18
	v_add_nc_u32_e32 v8, 1, v4
	v_sub_nc_u32_e32 v7, v5, v7
	v_subrev_nc_u32_e32 v9, s18, v7
	v_cmp_le_u32_e32 vcc_lo, s18, v7
	v_cndmask_b32_e32 v7, v7, v9, vcc_lo
	v_cndmask_b32_e32 v4, v4, v8, vcc_lo
	v_cmp_le_u32_e32 vcc_lo, s18, v7
	v_add_nc_u32_e32 v8, 1, v4
	v_cndmask_b32_e32 v7, v4, v8, vcc_lo
	v_mov_b32_e32 v8, v3
.LBB0_6:                                ;   in Loop: Header=BB0_2 Depth=1
	s_or_b32 exec_lo, exec_lo, s0
	s_load_dwordx2 s[0:1], s[6:7], 0x0
	v_mul_lo_u32 v4, v8, s18
	v_mul_lo_u32 v11, v7, s19
	v_mad_u64_u32 v[9:10], null, v7, s18, 0
	s_add_u32 s16, s16, 1
	s_addc_u32 s17, s17, 0
	s_add_u32 s6, s6, 8
	s_addc_u32 s7, s7, 0
	;; [unrolled: 2-line block ×3, first 2 shown]
	v_add3_u32 v4, v10, v11, v4
	v_sub_co_u32 v5, vcc_lo, v5, v9
	v_sub_co_ci_u32_e32 v4, vcc_lo, v6, v4, vcc_lo
	s_waitcnt lgkmcnt(0)
	v_mul_lo_u32 v6, s1, v5
	v_mul_lo_u32 v4, s0, v4
	v_mad_u64_u32 v[1:2], null, s0, v5, v[1:2]
	v_cmp_ge_u64_e64 s0, s[16:17], s[10:11]
	s_and_b32 vcc_lo, exec_lo, s0
	v_add3_u32 v2, v6, v2, v4
	s_cbranch_vccnz .LBB0_9
; %bb.7:                                ;   in Loop: Header=BB0_2 Depth=1
	v_mov_b32_e32 v5, v7
	v_mov_b32_e32 v6, v8
	s_branch .LBB0_2
.LBB0_8:
	v_mov_b32_e32 v8, v6
	v_mov_b32_e32 v7, v5
.LBB0_9:
	s_lshl_b64 s[0:1], s[10:11], 3
	v_mul_hi_u32 v5, 0x1c71c72, v0
	s_add_u32 s0, s12, s0
	s_addc_u32 s1, s13, s1
	s_load_dwordx2 s[0:1], s[0:1], 0x0
	s_load_dwordx2 s[4:5], s[4:5], 0x20
	s_waitcnt lgkmcnt(0)
	v_mul_lo_u32 v3, s0, v8
	v_mul_lo_u32 v4, s1, v7
	v_mad_u64_u32 v[1:2], null, s0, v7, v[1:2]
	v_cmp_gt_u64_e32 vcc_lo, s[4:5], v[7:8]
	v_add3_u32 v2, v4, v2, v3
	v_mul_u32_u24_e32 v3, 0x90, v5
	v_lshlrev_b64 v[38:39], 4, v[1:2]
	v_sub_nc_u32_e32 v36, v0, v3
	s_and_saveexec_b32 s1, vcc_lo
	s_cbranch_execz .LBB0_13
; %bb.10:
	v_mov_b32_e32 v37, 0
	v_add_co_u32 v0, s0, s2, v38
	v_add_co_ci_u32_e64 v1, s0, s3, v39, s0
	v_lshlrev_b64 v[2:3], 4, v[36:37]
	v_lshl_add_u32 v34, v36, 4, 0
	s_mov_b32 s4, exec_lo
	v_add_co_u32 v10, s0, v0, v2
	v_add_co_ci_u32_e64 v11, s0, v1, v3, s0
	v_add_co_u32 v6, s0, 0x800, v10
	v_add_co_ci_u32_e64 v7, s0, 0, v11, s0
	;; [unrolled: 2-line block ×8, first 2 shown]
	s_clause 0x7
	global_load_dwordx4 v[2:5], v[10:11], off
	global_load_dwordx4 v[6:9], v[6:7], off offset:256
	global_load_dwordx4 v[10:13], v[12:13], off offset:512
	;; [unrolled: 1-line block ×7, first 2 shown]
	s_waitcnt vmcnt(7)
	ds_write_b128 v34, v[2:5]
	s_waitcnt vmcnt(6)
	ds_write_b128 v34, v[6:9] offset:2304
	s_waitcnt vmcnt(5)
	ds_write_b128 v34, v[10:13] offset:4608
	;; [unrolled: 2-line block ×7, first 2 shown]
	v_cmpx_eq_u32_e32 0x8f, v36
	s_cbranch_execz .LBB0_12
; %bb.11:
	v_add_co_u32 v0, s0, 0x4800, v0
	v_add_co_ci_u32_e64 v1, s0, 0, v1, s0
	v_mov_b32_e32 v36, 0x8f
	global_load_dwordx4 v[0:3], v[0:1], off
	s_waitcnt vmcnt(0)
	ds_write_b128 v37, v[0:3] offset:18432
.LBB0_12:
	s_or_b32 exec_lo, exec_lo, s4
.LBB0_13:
	s_or_b32 exec_lo, exec_lo, s1
	v_lshlrev_b32_e32 v0, 4, v36
	s_waitcnt lgkmcnt(0)
	s_barrier
	buffer_gl0_inv
	s_add_u32 s1, s8, 0x47c0
	v_add_nc_u32_e32 v44, 0, v0
	v_sub_nc_u32_e32 v4, 0, v0
	s_addc_u32 s4, s9, 0
	s_mov_b32 s5, exec_lo
	ds_read_b64 v[2:3], v44
	ds_read_b64 v[5:6], v4 offset:18432
	s_waitcnt lgkmcnt(0)
	v_add_f64 v[0:1], v[2:3], v[5:6]
	v_add_f64 v[2:3], v[2:3], -v[5:6]
	v_cmpx_ne_u32_e32 0, v36
	s_xor_b32 s5, exec_lo, s5
	s_cbranch_execz .LBB0_15
; %bb.14:
	v_mov_b32_e32 v37, 0
	v_lshlrev_b64 v[5:6], 4, v[36:37]
	v_add_co_u32 v5, s0, s1, v5
	v_add_co_ci_u32_e64 v6, s0, s4, v6, s0
	global_load_dwordx4 v[5:8], v[5:6], off
	ds_read_b64 v[9:10], v4 offset:18440
	ds_read_b64 v[11:12], v44 offset:8
	s_waitcnt lgkmcnt(0)
	v_add_f64 v[13:14], v[9:10], v[11:12]
	v_add_f64 v[9:10], v[11:12], -v[9:10]
	s_waitcnt vmcnt(0)
	v_fma_f64 v[11:12], v[2:3], v[7:8], v[0:1]
	v_fma_f64 v[15:16], v[13:14], v[7:8], v[9:10]
	v_fma_f64 v[0:1], -v[2:3], v[7:8], v[0:1]
	v_fma_f64 v[17:18], v[13:14], v[7:8], -v[9:10]
	v_fma_f64 v[7:8], -v[13:14], v[5:6], v[11:12]
	v_fma_f64 v[9:10], v[2:3], v[5:6], v[15:16]
	v_fma_f64 v[0:1], v[13:14], v[5:6], v[0:1]
	;; [unrolled: 1-line block ×3, first 2 shown]
	ds_write_b128 v44, v[7:10]
	ds_write_b128 v4, v[0:3] offset:18432
                                        ; implicit-def: $vgpr0_vgpr1
.LBB0_15:
	s_andn2_saveexec_b32 s0, s5
	s_cbranch_execz .LBB0_17
; %bb.16:
	v_mov_b32_e32 v5, 0
	ds_write_b128 v44, v[0:3]
	ds_read_b128 v[0:3], v5 offset:9216
	s_waitcnt lgkmcnt(0)
	v_add_f64 v[0:1], v[0:1], v[0:1]
	v_mul_f64 v[2:3], v[2:3], -2.0
	ds_write_b128 v5, v[0:3] offset:9216
.LBB0_17:
	s_or_b32 exec_lo, exec_lo, s0
	v_add_nc_u32_e32 v42, 0x90, v36
	v_mov_b32_e32 v43, 0
	v_add_nc_u32_e32 v40, 0x120, v36
	v_add_nc_u32_e32 v9, 0x1b0, v36
	v_lshlrev_b64 v[0:1], 4, v[42:43]
	v_mov_b32_e32 v41, v43
	v_mov_b32_e32 v10, v43
	v_lshlrev_b64 v[5:6], 4, v[40:41]
	v_add_co_u32 v0, s0, s1, v0
	v_add_co_ci_u32_e64 v1, s0, s4, v1, s0
	v_lshlrev_b64 v[9:10], 4, v[9:10]
	v_add_co_u32 v5, s0, s1, v5
	global_load_dwordx4 v[0:3], v[0:1], off
	v_add_co_ci_u32_e64 v6, s0, s4, v6, s0
	v_add_co_u32 v9, s0, s1, v9
	v_add_co_ci_u32_e64 v10, s0, s4, v10, s0
	global_load_dwordx4 v[5:8], v[5:6], off
	v_cmp_gt_u32_e64 s0, 0x60, v36
	global_load_dwordx4 v[9:12], v[9:10], off
	ds_read_b128 v[13:16], v44 offset:2304
	ds_read_b128 v[17:20], v4 offset:16128
	s_waitcnt lgkmcnt(0)
	v_add_f64 v[21:22], v[13:14], v[17:18]
	v_add_f64 v[23:24], v[19:20], v[15:16]
	v_add_f64 v[25:26], v[13:14], -v[17:18]
	v_add_f64 v[13:14], v[15:16], -v[19:20]
	s_waitcnt vmcnt(2)
	v_fma_f64 v[15:16], v[25:26], v[2:3], v[21:22]
	v_fma_f64 v[17:18], v[23:24], v[2:3], v[13:14]
	v_fma_f64 v[19:20], -v[25:26], v[2:3], v[21:22]
	v_fma_f64 v[2:3], v[23:24], v[2:3], -v[13:14]
	v_fma_f64 v[13:14], -v[23:24], v[0:1], v[15:16]
	v_fma_f64 v[15:16], v[25:26], v[0:1], v[17:18]
	v_fma_f64 v[17:18], v[23:24], v[0:1], v[19:20]
	v_fma_f64 v[19:20], v[25:26], v[0:1], v[2:3]
	ds_write_b128 v44, v[13:16] offset:2304
	ds_write_b128 v4, v[17:20] offset:16128
	ds_read_b128 v[0:3], v44 offset:4608
	ds_read_b128 v[13:16], v4 offset:13824
	s_waitcnt lgkmcnt(0)
	v_add_f64 v[17:18], v[0:1], v[13:14]
	v_add_f64 v[19:20], v[15:16], v[2:3]
	v_add_f64 v[21:22], v[0:1], -v[13:14]
	v_add_f64 v[0:1], v[2:3], -v[15:16]
	s_waitcnt vmcnt(1)
	v_fma_f64 v[2:3], v[21:22], v[7:8], v[17:18]
	v_fma_f64 v[13:14], v[19:20], v[7:8], v[0:1]
	v_fma_f64 v[15:16], -v[21:22], v[7:8], v[17:18]
	v_fma_f64 v[7:8], v[19:20], v[7:8], -v[0:1]
	v_fma_f64 v[0:1], -v[19:20], v[5:6], v[2:3]
	v_fma_f64 v[2:3], v[21:22], v[5:6], v[13:14]
	v_fma_f64 v[13:14], v[19:20], v[5:6], v[15:16]
	v_fma_f64 v[15:16], v[21:22], v[5:6], v[7:8]
	ds_write_b128 v44, v[0:3] offset:4608
	ds_write_b128 v4, v[13:16] offset:13824
	;; [unrolled: 18-line block ×3, first 2 shown]
	s_waitcnt lgkmcnt(0)
	s_barrier
	buffer_gl0_inv
	s_barrier
	buffer_gl0_inv
	ds_read_b128 v[0:3], v44 offset:9216
	ds_read_b128 v[4:7], v44
	ds_read_b128 v[8:11], v44 offset:4608
	ds_read_b128 v[12:15], v44 offset:13824
	ds_read_b128 v[16:19], v44 offset:2304
	ds_read_b128 v[20:23], v44 offset:11520
	ds_read_b128 v[24:27], v44 offset:6912
	ds_read_b128 v[28:31], v44 offset:16128
	s_waitcnt lgkmcnt(0)
	s_barrier
	buffer_gl0_inv
	v_add_f64 v[32:33], v[4:5], -v[0:1]
	v_add_f64 v[34:35], v[6:7], -v[2:3]
	;; [unrolled: 1-line block ×8, first 2 shown]
	v_fma_f64 v[28:29], v[4:5], 2.0, -v[32:33]
	v_fma_f64 v[30:31], v[6:7], 2.0, -v[34:35]
	;; [unrolled: 1-line block ×8, first 2 shown]
	v_add_f64 v[0:1], v[32:33], -v[0:1]
	v_add_f64 v[2:3], v[34:35], v[2:3]
	v_add_f64 v[12:13], v[20:21], -v[12:13]
	v_add_f64 v[14:15], v[22:23], v[14:15]
	v_add_f64 v[8:9], v[28:29], -v[4:5]
	v_add_f64 v[10:11], v[30:31], -v[6:7]
	;; [unrolled: 1-line block ×4, first 2 shown]
	v_fma_f64 v[16:17], v[32:33], 2.0, -v[0:1]
	v_fma_f64 v[18:19], v[34:35], 2.0, -v[2:3]
	v_fma_f64 v[20:21], v[20:21], 2.0, -v[12:13]
	v_fma_f64 v[22:23], v[22:23], 2.0, -v[14:15]
	v_mad_u32_u24 v32, v36, 48, v44
	v_lshl_add_u32 v33, v42, 6, 0
                                        ; implicit-def: $vgpr34_vgpr35
	v_fma_f64 v[24:25], v[28:29], 2.0, -v[8:9]
	v_fma_f64 v[26:27], v[30:31], 2.0, -v[10:11]
	;; [unrolled: 1-line block ×4, first 2 shown]
	ds_write_b128 v32, v[0:3] offset:48
	ds_write_b128 v32, v[16:19] offset:16
	;; [unrolled: 1-line block ×3, first 2 shown]
	ds_write_b128 v32, v[24:27]
	ds_write_b128 v33, v[28:31]
	ds_write_b128 v33, v[20:23] offset:16
	ds_write_b128 v33, v[4:7] offset:32
	ds_write_b128 v33, v[12:15] offset:48
	s_waitcnt lgkmcnt(0)
	s_barrier
	buffer_gl0_inv
	ds_read_b128 v[8:11], v44
	ds_read_b128 v[0:3], v44 offset:2304
	ds_read_b128 v[24:27], v44 offset:6144
	;; [unrolled: 1-line block ×5, first 2 shown]
	s_and_saveexec_b32 s1, s0
	s_cbranch_execz .LBB0_19
; %bb.18:
	ds_read_b128 v[4:7], v44 offset:4608
	ds_read_b128 v[12:15], v44 offset:10752
	;; [unrolled: 1-line block ×3, first 2 shown]
.LBB0_19:
	s_or_b32 exec_lo, exec_lo, s1
	v_and_b32_e32 v37, 3, v36
	s_mov_b32 s4, 0xe8584caa
	s_mov_b32 s5, 0x3febb67a
	;; [unrolled: 1-line block ×4, first 2 shown]
	v_lshlrev_b32_e32 v41, 5, v37
	v_lshrrev_b32_e32 v43, 2, v42
	s_clause 0x1
	global_load_dwordx4 v[45:48], v41, s[8:9]
	global_load_dwordx4 v[49:52], v41, s[8:9] offset:16
	v_lshrrev_b32_e32 v41, 2, v36
	v_mul_u32_u24_e32 v43, 12, v43
	s_waitcnt vmcnt(0) lgkmcnt(0)
	s_barrier
	buffer_gl0_inv
	v_mul_u32_u24_e32 v41, 12, v41
	v_or_b32_e32 v43, v43, v37
	v_or_b32_e32 v41, v41, v37
	v_lshl_add_u32 v43, v43, 4, 0
	v_lshl_add_u32 v41, v41, 4, 0
	v_mul_f64 v[53:54], v[26:27], v[47:48]
	v_mul_f64 v[55:56], v[24:25], v[47:48]
	v_mul_f64 v[57:58], v[30:31], v[51:52]
	v_mul_f64 v[59:60], v[28:29], v[51:52]
	v_mul_f64 v[61:62], v[18:19], v[47:48]
	v_mul_f64 v[63:64], v[16:17], v[47:48]
	v_mul_f64 v[65:66], v[22:23], v[51:52]
	v_mul_f64 v[67:68], v[20:21], v[51:52]
	v_mul_f64 v[69:70], v[14:15], v[47:48]
	v_mul_f64 v[47:48], v[12:13], v[47:48]
	v_mul_f64 v[71:72], v[34:35], v[51:52]
	v_mul_f64 v[51:52], v[32:33], v[51:52]
	v_fma_f64 v[24:25], v[24:25], v[45:46], -v[53:54]
	v_fma_f64 v[26:27], v[26:27], v[45:46], v[55:56]
	v_fma_f64 v[28:29], v[28:29], v[49:50], -v[57:58]
	v_fma_f64 v[30:31], v[30:31], v[49:50], v[59:60]
	v_fma_f64 v[53:54], v[16:17], v[45:46], -v[61:62]
	v_fma_f64 v[55:56], v[18:19], v[45:46], v[63:64]
	v_fma_f64 v[57:58], v[20:21], v[49:50], -v[65:66]
	v_fma_f64 v[59:60], v[22:23], v[49:50], v[67:68]
	v_fma_f64 v[16:17], v[12:13], v[45:46], -v[69:70]
	v_fma_f64 v[18:19], v[14:15], v[45:46], v[47:48]
	v_fma_f64 v[12:13], v[32:33], v[49:50], -v[71:72]
	v_fma_f64 v[14:15], v[34:35], v[49:50], v[51:52]
	v_add_f64 v[49:50], v[8:9], v[24:25]
	v_add_f64 v[51:52], v[10:11], v[26:27]
	v_add_f64 v[20:21], v[24:25], v[28:29]
	v_add_f64 v[22:23], v[26:27], v[30:31]
	v_add_f64 v[61:62], v[0:1], v[53:54]
	v_add_f64 v[63:64], v[2:3], v[55:56]
	v_add_f64 v[32:33], v[53:54], v[57:58]
	v_add_f64 v[34:35], v[55:56], v[59:60]
	v_add_f64 v[55:56], v[55:56], -v[59:60]
	v_add_f64 v[73:74], v[53:54], -v[57:58]
	v_add_f64 v[45:46], v[16:17], v[12:13]
	v_add_f64 v[47:48], v[18:19], v[14:15]
	v_add_f64 v[65:66], v[26:27], -v[30:31]
	v_add_f64 v[67:68], v[24:25], -v[28:29]
	v_add_f64 v[24:25], v[49:50], v[28:29]
	v_add_f64 v[26:27], v[51:52], v[30:31]
	v_fma_f64 v[69:70], v[20:21], -0.5, v[8:9]
	v_fma_f64 v[71:72], v[22:23], -0.5, v[10:11]
	v_add_f64 v[10:11], v[18:19], -v[14:15]
	v_add_f64 v[22:23], v[16:17], -v[12:13]
	v_fma_f64 v[0:1], v[32:33], -0.5, v[0:1]
	v_fma_f64 v[2:3], v[34:35], -0.5, v[2:3]
	v_add_f64 v[28:29], v[61:62], v[57:58]
	v_add_f64 v[30:31], v[63:64], v[59:60]
	v_fma_f64 v[8:9], v[45:46], -0.5, v[4:5]
	v_fma_f64 v[20:21], v[47:48], -0.5, v[6:7]
	v_fma_f64 v[32:33], v[65:66], s[4:5], v[69:70]
	v_fma_f64 v[34:35], v[67:68], s[6:7], v[71:72]
	;; [unrolled: 1-line block ×10, first 2 shown]
	ds_write_b128 v41, v[24:27]
	ds_write_b128 v41, v[32:35] offset:64
	ds_write_b128 v41, v[45:48] offset:128
	ds_write_b128 v43, v[28:31]
	ds_write_b128 v43, v[49:52] offset:64
	ds_write_b128 v43, v[53:56] offset:128
	s_and_saveexec_b32 s1, s0
	s_cbranch_execz .LBB0_21
; %bb.20:
	v_add_f64 v[18:19], v[6:7], v[18:19]
	v_add_f64 v[4:5], v[4:5], v[16:17]
	v_mul_f64 v[22:23], v[22:23], s[4:5]
	v_mul_f64 v[10:11], v[10:11], s[4:5]
	v_add_f64 v[14:15], v[18:19], v[14:15]
	v_add_f64 v[12:13], v[4:5], v[12:13]
	v_add_f64 v[6:7], v[20:21], -v[22:23]
	v_add_f64 v[4:5], v[10:11], v[8:9]
	v_lshrrev_b32_e32 v8, 2, v40
	v_mul_u32_u24_e32 v8, 12, v8
	v_or_b32_e32 v8, v8, v37
	v_lshl_add_u32 v8, v8, 4, 0
	ds_write_b128 v8, v[12:15]
	ds_write_b128 v8, v[4:7] offset:64
	ds_write_b128 v8, v[0:3] offset:128
.LBB0_21:
	s_or_b32 exec_lo, exec_lo, s1
	v_and_b32_e32 v4, 0xff, v36
	v_mov_b32_e32 v5, 7
	s_waitcnt lgkmcnt(0)
	s_barrier
	buffer_gl0_inv
	v_mul_lo_u16 v4, 0xab, v4
	s_mov_b32 s4, 0x667f3bcd
	s_mov_b32 s5, 0xbfe6a09e
	;; [unrolled: 1-line block ×4, first 2 shown]
	v_lshrrev_b16 v37, 11, v4
	v_mul_lo_u16 v4, v37, 12
	v_sub_nc_u16 v41, v36, v4
	v_mul_u32_u24_sdwa v4, v41, v5 dst_sel:DWORD dst_unused:UNUSED_PAD src0_sel:BYTE_0 src1_sel:DWORD
	v_lshlrev_b32_e32 v28, 4, v4
	s_clause 0x6
	global_load_dwordx4 v[4:7], v28, s[8:9] offset:128
	global_load_dwordx4 v[8:11], v28, s[8:9] offset:144
	;; [unrolled: 1-line block ×7, first 2 shown]
	ds_read_b128 v[32:35], v44 offset:2304
	ds_read_b128 v[45:48], v44 offset:4608
	;; [unrolled: 1-line block ×3, first 2 shown]
	ds_read_b128 v[53:56], v44
	ds_read_b128 v[57:60], v44 offset:6912
	ds_read_b128 v[61:64], v44 offset:11520
	;; [unrolled: 1-line block ×4, first 2 shown]
	s_waitcnt vmcnt(0) lgkmcnt(0)
	s_barrier
	buffer_gl0_inv
	v_mul_f64 v[73:74], v[34:35], v[6:7]
	v_mul_f64 v[6:7], v[32:33], v[6:7]
	;; [unrolled: 1-line block ×5, first 2 shown]
	v_fma_f64 v[32:33], v[32:33], v[4:5], -v[73:74]
	v_fma_f64 v[4:5], v[34:35], v[4:5], v[6:7]
	v_mul_f64 v[6:7], v[49:50], v[14:15]
	v_mul_f64 v[14:15], v[63:64], v[18:19]
	;; [unrolled: 1-line block ×4, first 2 shown]
	v_fma_f64 v[45:46], v[45:46], v[8:9], -v[75:76]
	v_fma_f64 v[8:9], v[47:48], v[8:9], v[10:11]
	v_mul_f64 v[10:11], v[65:66], v[22:23]
	v_mul_f64 v[22:23], v[59:60], v[26:27]
	;; [unrolled: 1-line block ×4, first 2 shown]
	v_fma_f64 v[49:50], v[49:50], v[12:13], -v[77:78]
	v_fma_f64 v[6:7], v[51:52], v[12:13], v[6:7]
	v_mul_f64 v[12:13], v[69:70], v[30:31]
	v_fma_f64 v[14:15], v[61:62], v[16:17], -v[14:15]
	v_fma_f64 v[30:31], v[65:66], v[20:21], -v[34:35]
	v_fma_f64 v[16:17], v[63:64], v[16:17], v[18:19]
	v_fma_f64 v[10:11], v[67:68], v[20:21], v[10:11]
	v_fma_f64 v[18:19], v[57:58], v[24:25], -v[22:23]
	v_fma_f64 v[20:21], v[59:60], v[24:25], v[26:27]
	v_fma_f64 v[22:23], v[69:70], v[28:29], -v[47:48]
	v_add_f64 v[24:25], v[53:54], -v[49:50]
	v_add_f64 v[6:7], v[55:56], -v[6:7]
	v_fma_f64 v[12:13], v[71:72], v[28:29], v[12:13]
	v_add_f64 v[14:15], v[32:33], -v[14:15]
	v_add_f64 v[26:27], v[45:46], -v[30:31]
	;; [unrolled: 1-line block ×5, first 2 shown]
	v_fma_f64 v[28:29], v[53:54], 2.0, -v[24:25]
	v_fma_f64 v[30:31], v[55:56], 2.0, -v[6:7]
	v_add_f64 v[12:13], v[20:21], -v[12:13]
	v_fma_f64 v[32:33], v[32:33], 2.0, -v[14:15]
	v_fma_f64 v[34:35], v[45:46], 2.0, -v[26:27]
	;; [unrolled: 1-line block ×3, first 2 shown]
	v_add_f64 v[26:27], v[6:7], v[26:27]
	v_fma_f64 v[8:9], v[8:9], 2.0, -v[10:11]
	v_add_f64 v[45:46], v[24:25], -v[10:11]
	v_fma_f64 v[10:11], v[18:19], 2.0, -v[22:23]
	v_fma_f64 v[18:19], v[20:21], 2.0, -v[12:13]
	v_add_f64 v[12:13], v[14:15], -v[12:13]
	v_add_f64 v[20:21], v[16:17], v[22:23]
	v_add_f64 v[22:23], v[28:29], -v[34:35]
	v_fma_f64 v[49:50], v[6:7], 2.0, -v[26:27]
	v_add_f64 v[34:35], v[30:31], -v[8:9]
	v_fma_f64 v[47:48], v[24:25], 2.0, -v[45:46]
	v_add_f64 v[6:7], v[32:33], -v[10:11]
	v_add_f64 v[8:9], v[4:5], -v[18:19]
	v_fma_f64 v[18:19], v[14:15], 2.0, -v[12:13]
	v_fma_f64 v[16:17], v[16:17], 2.0, -v[20:21]
	v_fma_f64 v[10:11], v[12:13], s[6:7], v[45:46]
	v_fma_f64 v[14:15], v[20:21], s[6:7], v[26:27]
	v_fma_f64 v[28:29], v[28:29], 2.0, -v[22:23]
	v_fma_f64 v[30:31], v[30:31], 2.0, -v[34:35]
	;; [unrolled: 1-line block ×3, first 2 shown]
	v_add_f64 v[6:7], v[34:35], v[6:7]
	v_fma_f64 v[32:33], v[4:5], 2.0, -v[8:9]
	v_fma_f64 v[51:52], v[18:19], s[4:5], v[47:48]
	v_fma_f64 v[53:54], v[16:17], s[4:5], v[49:50]
	v_add_f64 v[4:5], v[22:23], -v[8:9]
	v_fma_f64 v[8:9], v[20:21], s[4:5], v[10:11]
	v_fma_f64 v[10:11], v[12:13], s[6:7], v[14:15]
	v_mov_b32_e32 v20, 0x60
	v_add_f64 v[12:13], v[28:29], -v[24:25]
	v_mul_u32_u24_sdwa v37, v37, v20 dst_sel:DWORD dst_unused:UNUSED_PAD src0_sel:WORD_0 src1_sel:DWORD
	v_or_b32_sdwa v37, v37, v41 dst_sel:DWORD dst_unused:UNUSED_PAD src0_sel:DWORD src1_sel:BYTE_0
	v_lshl_add_u32 v37, v37, 4, 0
	v_add_f64 v[14:15], v[30:31], -v[32:33]
	v_fma_f64 v[16:17], v[16:17], s[4:5], v[51:52]
	v_fma_f64 v[18:19], v[18:19], s[6:7], v[53:54]
	v_fma_f64 v[20:21], v[22:23], 2.0, -v[4:5]
	v_fma_f64 v[22:23], v[34:35], 2.0, -v[6:7]
	;; [unrolled: 1-line block ×8, first 2 shown]
	ds_write_b128 v37, v[4:7] offset:1152
	ds_write_b128 v37, v[8:11] offset:1344
	;; [unrolled: 1-line block ×6, first 2 shown]
	ds_write_b128 v37, v[28:31]
	ds_write_b128 v37, v[32:35] offset:192
	s_waitcnt lgkmcnt(0)
	s_barrier
	buffer_gl0_inv
	ds_read_b128 v[16:19], v44
	ds_read_b128 v[12:15], v44 offset:2304
	ds_read_b128 v[28:31], v44 offset:6144
	;; [unrolled: 1-line block ×5, first 2 shown]
	s_and_saveexec_b32 s1, s0
	s_cbranch_execz .LBB0_23
; %bb.22:
	ds_read_b128 v[4:7], v44 offset:4608
	ds_read_b128 v[8:11], v44 offset:10752
	;; [unrolled: 1-line block ×3, first 2 shown]
.LBB0_23:
	s_or_b32 exec_lo, exec_lo, s1
	v_mov_b32_e32 v37, 0xaaab
	v_add_nc_u32_e32 v41, 0xffffffa0, v36
	v_mov_b32_e32 v46, 0
	v_mov_b32_e32 v47, 5
	s_mov_b32 s4, 0xe8584caa
	v_mul_u32_u24_sdwa v43, v42, v37 dst_sel:DWORD dst_unused:UNUSED_PAD src0_sel:WORD_0 src1_sel:DWORD
	v_cndmask_b32_e64 v67, v41, v36, s0
	s_mov_b32 s5, 0x3febb67a
	s_mov_b32 s7, 0xbfebb67a
	;; [unrolled: 1-line block ×3, first 2 shown]
	v_lshrrev_b32_e32 v43, 22, v43
	v_lshlrev_b32_e32 v45, 1, v67
	v_mul_lo_u16 v41, 0x60, v43
	v_lshlrev_b64 v[45:46], 4, v[45:46]
	v_mul_u32_u24_e32 v43, 0x1200, v43
	v_sub_nc_u16 v68, v42, v41
	v_add_co_u32 v41, s1, s8, v45
	v_add_co_ci_u32_e64 v42, s1, s9, v46, s1
	v_lshlrev_b32_sdwa v57, v47, v68 dst_sel:DWORD dst_unused:UNUSED_PAD src0_sel:DWORD src1_sel:WORD_0
	v_cmp_lt_u32_e64 s1, 0x5f, v36
	s_clause 0x3
	global_load_dwordx4 v[45:48], v[41:42], off offset:1472
	global_load_dwordx4 v[49:52], v[41:42], off offset:1488
	global_load_dwordx4 v[53:56], v57, s[8:9] offset:1472
	global_load_dwordx4 v[57:60], v57, s[8:9] offset:1488
	s_waitcnt vmcnt(0) lgkmcnt(0)
	s_barrier
	buffer_gl0_inv
	v_mul_f64 v[41:42], v[30:31], v[47:48]
	v_mul_f64 v[61:62], v[34:35], v[51:52]
	;; [unrolled: 1-line block ×8, first 2 shown]
	v_fma_f64 v[28:29], v[28:29], v[45:46], -v[41:42]
	v_fma_f64 v[32:33], v[32:33], v[49:50], -v[61:62]
	v_fma_f64 v[30:31], v[30:31], v[45:46], v[47:48]
	v_fma_f64 v[34:35], v[34:35], v[49:50], v[51:52]
	v_fma_f64 v[20:21], v[20:21], v[53:54], -v[63:64]
	v_fma_f64 v[24:25], v[24:25], v[57:58], -v[65:66]
	v_fma_f64 v[22:23], v[22:23], v[53:54], v[55:56]
	v_fma_f64 v[26:27], v[26:27], v[57:58], v[59:60]
	v_add_f64 v[51:52], v[16:17], v[28:29]
	v_add_f64 v[41:42], v[28:29], v[32:33]
	v_add_f64 v[28:29], v[28:29], -v[32:33]
	v_add_f64 v[45:46], v[30:31], v[34:35]
	v_add_f64 v[53:54], v[30:31], -v[34:35]
	v_add_f64 v[47:48], v[20:21], v[24:25]
	v_add_f64 v[30:31], v[18:19], v[30:31]
	;; [unrolled: 1-line block ×5, first 2 shown]
	v_add_f64 v[59:60], v[22:23], -v[26:27]
	v_add_f64 v[61:62], v[20:21], -v[24:25]
	v_fma_f64 v[41:42], v[41:42], -0.5, v[16:17]
	v_fma_f64 v[45:46], v[45:46], -0.5, v[18:19]
	;; [unrolled: 1-line block ×3, first 2 shown]
	v_add_f64 v[12:13], v[51:52], v[32:33]
	v_fma_f64 v[49:50], v[49:50], -0.5, v[14:15]
	v_add_f64 v[14:15], v[30:31], v[34:35]
	v_add_f64 v[16:17], v[55:56], v[24:25]
	;; [unrolled: 1-line block ×3, first 2 shown]
	v_fma_f64 v[20:21], v[53:54], s[4:5], v[41:42]
	v_fma_f64 v[24:25], v[53:54], s[6:7], v[41:42]
	;; [unrolled: 1-line block ×8, first 2 shown]
	v_mov_b32_e32 v41, 4
	v_cndmask_b32_e64 v42, 0, 0x1200, s1
	v_lshlrev_b32_e32 v45, 4, v67
	v_lshlrev_b32_sdwa v41, v41, v68 dst_sel:DWORD dst_unused:UNUSED_PAD src0_sel:DWORD src1_sel:WORD_0
	v_add3_u32 v42, 0, v42, v45
	v_add3_u32 v41, 0, v43, v41
	ds_write_b128 v42, v[12:15]
	ds_write_b128 v42, v[20:23] offset:1536
	ds_write_b128 v42, v[24:27] offset:3072
	ds_write_b128 v41, v[16:19]
	ds_write_b128 v41, v[28:31] offset:1536
	ds_write_b128 v41, v[32:35] offset:3072
	s_and_saveexec_b32 s1, s0
	s_cbranch_execz .LBB0_25
; %bb.24:
	v_mul_u32_u24_sdwa v12, v40, v37 dst_sel:DWORD dst_unused:UNUSED_PAD src0_sel:WORD_0 src1_sel:DWORD
	v_lshrrev_b32_e32 v12, 22, v12
	v_mul_lo_u16 v12, 0x60, v12
	v_sub_nc_u16 v12, v40, v12
	v_and_b32_e32 v24, 0xffff, v12
	v_lshlrev_b32_e32 v16, 5, v24
	s_clause 0x1
	global_load_dwordx4 v[12:15], v16, s[8:9] offset:1472
	global_load_dwordx4 v[16:19], v16, s[8:9] offset:1488
	s_waitcnt vmcnt(1)
	v_mul_f64 v[20:21], v[8:9], v[14:15]
	s_waitcnt vmcnt(0)
	v_mul_f64 v[22:23], v[0:1], v[18:19]
	v_mul_f64 v[14:15], v[10:11], v[14:15]
	;; [unrolled: 1-line block ×3, first 2 shown]
	v_fma_f64 v[10:11], v[10:11], v[12:13], v[20:21]
	v_fma_f64 v[2:3], v[2:3], v[16:17], v[22:23]
	v_fma_f64 v[8:9], v[8:9], v[12:13], -v[14:15]
	v_fma_f64 v[0:1], v[0:1], v[16:17], -v[18:19]
	v_add_f64 v[18:19], v[6:7], v[10:11]
	v_add_f64 v[12:13], v[10:11], v[2:3]
	v_add_f64 v[20:21], v[10:11], -v[2:3]
	v_add_f64 v[14:15], v[8:9], v[0:1]
	v_add_f64 v[16:17], v[8:9], -v[0:1]
	v_add_f64 v[8:9], v[4:5], v[8:9]
	v_add_f64 v[2:3], v[18:19], v[2:3]
	v_fma_f64 v[12:13], v[12:13], -0.5, v[6:7]
	v_fma_f64 v[4:5], v[14:15], -0.5, v[4:5]
	v_add_f64 v[0:1], v[8:9], v[0:1]
	v_fma_f64 v[10:11], v[16:17], s[6:7], v[12:13]
	v_fma_f64 v[6:7], v[16:17], s[4:5], v[12:13]
	v_fma_f64 v[8:9], v[20:21], s[4:5], v[4:5]
	v_fma_f64 v[4:5], v[20:21], s[6:7], v[4:5]
	v_lshl_add_u32 v12, v24, 4, 0
	ds_write_b128 v12, v[0:3] offset:13824
	ds_write_b128 v12, v[8:11] offset:15360
	;; [unrolled: 1-line block ×3, first 2 shown]
.LBB0_25:
	s_or_b32 exec_lo, exec_lo, s1
	v_mul_u32_u24_e32 v0, 3, v36
	s_waitcnt lgkmcnt(0)
	s_barrier
	buffer_gl0_inv
	v_lshlrev_b32_e32 v0, 4, v0
	v_add_co_u32 v10, s0, s8, v0
	v_add_co_ci_u32_e64 v11, null, s9, 0, s0
	v_add_co_u32 v0, s0, 0x1000, v10
	v_add_co_ci_u32_e64 v1, s0, 0, v11, s0
	v_add_co_u32 v8, s0, 0x11c0, v10
	v_add_co_ci_u32_e64 v9, s0, 0, v11, s0
	;; [unrolled: 2-line block ×4, first 2 shown]
	s_clause 0x5
	global_load_dwordx4 v[0:3], v[0:1], off offset:448
	global_load_dwordx4 v[4:7], v[8:9], off offset:16
	;; [unrolled: 1-line block ×6, first 2 shown]
	ds_read_b128 v[24:27], v44 offset:4608
	ds_read_b128 v[28:31], v44 offset:9216
	;; [unrolled: 1-line block ×6, first 2 shown]
	s_waitcnt vmcnt(3) lgkmcnt(3)
	v_mul_f64 v[57:58], v[34:35], v[10:11]
	v_mul_f64 v[53:54], v[26:27], v[2:3]
	;; [unrolled: 1-line block ×6, first 2 shown]
	s_waitcnt vmcnt(2) lgkmcnt(2)
	v_mul_f64 v[59:60], v[42:43], v[14:15]
	v_mul_f64 v[14:15], v[40:41], v[14:15]
	s_waitcnt vmcnt(1) lgkmcnt(1)
	v_mul_f64 v[61:62], v[47:48], v[18:19]
	v_mul_f64 v[18:19], v[45:46], v[18:19]
	;; [unrolled: 3-line block ×3, first 2 shown]
	v_fma_f64 v[53:54], v[24:25], v[0:1], -v[53:54]
	v_fma_f64 v[26:27], v[26:27], v[0:1], v[2:3]
	v_fma_f64 v[28:29], v[28:29], v[4:5], -v[55:56]
	v_fma_f64 v[4:5], v[30:31], v[4:5], v[6:7]
	;; [unrolled: 2-line block ×6, first 2 shown]
	ds_read_b128 v[0:3], v44
	ds_read_b128 v[22:25], v44 offset:2304
	s_waitcnt lgkmcnt(0)
	s_barrier
	buffer_gl0_inv
	v_add_f64 v[28:29], v[0:1], -v[28:29]
	v_add_f64 v[30:31], v[2:3], -v[4:5]
	;; [unrolled: 1-line block ×8, first 2 shown]
	v_fma_f64 v[40:41], v[0:1], 2.0, -v[28:29]
	v_fma_f64 v[42:43], v[2:3], 2.0, -v[30:31]
	;; [unrolled: 1-line block ×8, first 2 shown]
	v_add_f64 v[0:1], v[28:29], -v[6:7]
	v_add_f64 v[2:3], v[30:31], v[4:5]
	v_add_f64 v[4:5], v[32:33], -v[14:15]
	v_add_f64 v[6:7], v[34:35], v[8:9]
	v_add_f64 v[8:9], v[40:41], -v[16:17]
	v_add_f64 v[10:11], v[42:43], -v[18:19]
	;; [unrolled: 1-line block ×4, first 2 shown]
	v_fma_f64 v[16:17], v[28:29], 2.0, -v[0:1]
	v_fma_f64 v[18:19], v[30:31], 2.0, -v[2:3]
	;; [unrolled: 1-line block ×8, first 2 shown]
	ds_write_b128 v44, v[0:3] offset:13824
	ds_write_b128 v44, v[4:7] offset:16128
	;; [unrolled: 1-line block ×6, first 2 shown]
	ds_write_b128 v44, v[24:27]
	ds_write_b128 v44, v[28:31] offset:2304
	s_waitcnt lgkmcnt(0)
	s_barrier
	buffer_gl0_inv
	s_and_saveexec_b32 s0, vcc_lo
	s_cbranch_execz .LBB0_27
; %bb.26:
	v_lshl_add_u32 v28, v36, 4, 0
	v_mov_b32_e32 v37, 0
	v_add_co_u32 v30, vcc_lo, s2, v38
	v_add_co_ci_u32_e32 v31, vcc_lo, s3, v39, vcc_lo
	ds_read_b128 v[0:3], v28
	v_lshlrev_b64 v[17:18], 4, v[36:37]
	ds_read_b128 v[4:7], v28 offset:2304
	ds_read_b128 v[8:11], v28 offset:4608
	v_add_nc_u32_e32 v12, 0x90, v36
	v_mov_b32_e32 v13, v37
	v_add_nc_u32_e32 v14, 0x120, v36
	v_mov_b32_e32 v15, v37
	v_add_co_u32 v17, vcc_lo, v30, v17
	v_lshlrev_b64 v[12:13], 4, v[12:13]
	v_add_co_ci_u32_e32 v18, vcc_lo, v31, v18, vcc_lo
	v_add_nc_u32_e32 v16, 0x1b0, v36
	v_lshlrev_b64 v[14:15], 4, v[14:15]
	v_mov_b32_e32 v19, v37
	v_add_co_u32 v12, vcc_lo, v30, v12
	v_add_co_ci_u32_e32 v13, vcc_lo, v31, v13, vcc_lo
	v_add_co_u32 v14, vcc_lo, v30, v14
	s_waitcnt lgkmcnt(2)
	global_store_dwordx4 v[17:18], v[0:3], off
	v_mov_b32_e32 v17, v37
	v_add_nc_u32_e32 v18, 0x240, v36
	s_waitcnt lgkmcnt(1)
	global_store_dwordx4 v[12:13], v[4:7], off
	v_add_co_ci_u32_e32 v15, vcc_lo, v31, v15, vcc_lo
	v_lshlrev_b64 v[16:17], 4, v[16:17]
	v_lshlrev_b64 v[4:5], 4, v[18:19]
	v_add_nc_u32_e32 v12, 0x2d0, v36
	v_mov_b32_e32 v13, v37
	s_waitcnt lgkmcnt(0)
	global_store_dwordx4 v[14:15], v[8:11], off
	ds_read_b128 v[0:3], v28 offset:6912
	v_add_co_u32 v20, vcc_lo, v30, v16
	v_add_co_ci_u32_e32 v21, vcc_lo, v31, v17, vcc_lo
	v_add_co_u32 v22, vcc_lo, v30, v4
	v_add_co_ci_u32_e32 v23, vcc_lo, v31, v5, vcc_lo
	ds_read_b128 v[4:7], v28 offset:9216
	ds_read_b128 v[8:11], v28 offset:11520
	v_lshlrev_b64 v[26:27], 4, v[12:13]
	ds_read_b128 v[12:15], v28 offset:13824
	ds_read_b128 v[16:19], v28 offset:16128
	v_add_nc_u32_e32 v24, 0x360, v36
	v_mov_b32_e32 v25, v37
	v_add_nc_u32_e32 v36, 0x3f0, v36
	v_add_co_u32 v26, vcc_lo, v30, v26
	v_lshlrev_b64 v[24:25], 4, v[24:25]
	v_lshlrev_b64 v[28:29], 4, v[36:37]
	v_add_co_ci_u32_e32 v27, vcc_lo, v31, v27, vcc_lo
	v_add_co_u32 v24, vcc_lo, v30, v24
	v_add_co_ci_u32_e32 v25, vcc_lo, v31, v25, vcc_lo
	v_add_co_u32 v28, vcc_lo, v30, v28
	v_add_co_ci_u32_e32 v29, vcc_lo, v31, v29, vcc_lo
	s_waitcnt lgkmcnt(4)
	global_store_dwordx4 v[20:21], v[0:3], off
	s_waitcnt lgkmcnt(3)
	global_store_dwordx4 v[22:23], v[4:7], off
	;; [unrolled: 2-line block ×5, first 2 shown]
.LBB0_27:
	s_endpgm
	.section	.rodata,"a",@progbits
	.p2align	6, 0x0
	.amdhsa_kernel fft_rtc_fwd_len1152_factors_4_3_8_3_4_wgs_144_tpt_144_halfLds_dp_ip_CI_unitstride_sbrr_C2R_dirReg
		.amdhsa_group_segment_fixed_size 0
		.amdhsa_private_segment_fixed_size 0
		.amdhsa_kernarg_size 88
		.amdhsa_user_sgpr_count 6
		.amdhsa_user_sgpr_private_segment_buffer 1
		.amdhsa_user_sgpr_dispatch_ptr 0
		.amdhsa_user_sgpr_queue_ptr 0
		.amdhsa_user_sgpr_kernarg_segment_ptr 1
		.amdhsa_user_sgpr_dispatch_id 0
		.amdhsa_user_sgpr_flat_scratch_init 0
		.amdhsa_user_sgpr_private_segment_size 0
		.amdhsa_wavefront_size32 1
		.amdhsa_uses_dynamic_stack 0
		.amdhsa_system_sgpr_private_segment_wavefront_offset 0
		.amdhsa_system_sgpr_workgroup_id_x 1
		.amdhsa_system_sgpr_workgroup_id_y 0
		.amdhsa_system_sgpr_workgroup_id_z 0
		.amdhsa_system_sgpr_workgroup_info 0
		.amdhsa_system_vgpr_workitem_id 0
		.amdhsa_next_free_vgpr 79
		.amdhsa_next_free_sgpr 21
		.amdhsa_reserve_vcc 1
		.amdhsa_reserve_flat_scratch 0
		.amdhsa_float_round_mode_32 0
		.amdhsa_float_round_mode_16_64 0
		.amdhsa_float_denorm_mode_32 3
		.amdhsa_float_denorm_mode_16_64 3
		.amdhsa_dx10_clamp 1
		.amdhsa_ieee_mode 1
		.amdhsa_fp16_overflow 0
		.amdhsa_workgroup_processor_mode 1
		.amdhsa_memory_ordered 1
		.amdhsa_forward_progress 0
		.amdhsa_shared_vgpr_count 0
		.amdhsa_exception_fp_ieee_invalid_op 0
		.amdhsa_exception_fp_denorm_src 0
		.amdhsa_exception_fp_ieee_div_zero 0
		.amdhsa_exception_fp_ieee_overflow 0
		.amdhsa_exception_fp_ieee_underflow 0
		.amdhsa_exception_fp_ieee_inexact 0
		.amdhsa_exception_int_div_zero 0
	.end_amdhsa_kernel
	.text
.Lfunc_end0:
	.size	fft_rtc_fwd_len1152_factors_4_3_8_3_4_wgs_144_tpt_144_halfLds_dp_ip_CI_unitstride_sbrr_C2R_dirReg, .Lfunc_end0-fft_rtc_fwd_len1152_factors_4_3_8_3_4_wgs_144_tpt_144_halfLds_dp_ip_CI_unitstride_sbrr_C2R_dirReg
                                        ; -- End function
	.section	.AMDGPU.csdata,"",@progbits
; Kernel info:
; codeLenInByte = 6988
; NumSgprs: 23
; NumVgprs: 79
; ScratchSize: 0
; MemoryBound: 0
; FloatMode: 240
; IeeeMode: 1
; LDSByteSize: 0 bytes/workgroup (compile time only)
; SGPRBlocks: 2
; VGPRBlocks: 9
; NumSGPRsForWavesPerEU: 23
; NumVGPRsForWavesPerEU: 79
; Occupancy: 12
; WaveLimiterHint : 1
; COMPUTE_PGM_RSRC2:SCRATCH_EN: 0
; COMPUTE_PGM_RSRC2:USER_SGPR: 6
; COMPUTE_PGM_RSRC2:TRAP_HANDLER: 0
; COMPUTE_PGM_RSRC2:TGID_X_EN: 1
; COMPUTE_PGM_RSRC2:TGID_Y_EN: 0
; COMPUTE_PGM_RSRC2:TGID_Z_EN: 0
; COMPUTE_PGM_RSRC2:TIDIG_COMP_CNT: 0
	.text
	.p2alignl 6, 3214868480
	.fill 48, 4, 3214868480
	.type	__hip_cuid_e776320edca5f8d6,@object ; @__hip_cuid_e776320edca5f8d6
	.section	.bss,"aw",@nobits
	.globl	__hip_cuid_e776320edca5f8d6
__hip_cuid_e776320edca5f8d6:
	.byte	0                               ; 0x0
	.size	__hip_cuid_e776320edca5f8d6, 1

	.ident	"AMD clang version 19.0.0git (https://github.com/RadeonOpenCompute/llvm-project roc-6.4.0 25133 c7fe45cf4b819c5991fe208aaa96edf142730f1d)"
	.section	".note.GNU-stack","",@progbits
	.addrsig
	.addrsig_sym __hip_cuid_e776320edca5f8d6
	.amdgpu_metadata
---
amdhsa.kernels:
  - .args:
      - .actual_access:  read_only
        .address_space:  global
        .offset:         0
        .size:           8
        .value_kind:     global_buffer
      - .offset:         8
        .size:           8
        .value_kind:     by_value
      - .actual_access:  read_only
        .address_space:  global
        .offset:         16
        .size:           8
        .value_kind:     global_buffer
      - .actual_access:  read_only
        .address_space:  global
        .offset:         24
        .size:           8
        .value_kind:     global_buffer
      - .offset:         32
        .size:           8
        .value_kind:     by_value
      - .actual_access:  read_only
        .address_space:  global
        .offset:         40
        .size:           8
        .value_kind:     global_buffer
      - .actual_access:  read_only
        .address_space:  global
        .offset:         48
        .size:           8
        .value_kind:     global_buffer
      - .offset:         56
        .size:           4
        .value_kind:     by_value
      - .actual_access:  read_only
        .address_space:  global
        .offset:         64
        .size:           8
        .value_kind:     global_buffer
      - .actual_access:  read_only
        .address_space:  global
        .offset:         72
        .size:           8
        .value_kind:     global_buffer
      - .address_space:  global
        .offset:         80
        .size:           8
        .value_kind:     global_buffer
    .group_segment_fixed_size: 0
    .kernarg_segment_align: 8
    .kernarg_segment_size: 88
    .language:       OpenCL C
    .language_version:
      - 2
      - 0
    .max_flat_workgroup_size: 144
    .name:           fft_rtc_fwd_len1152_factors_4_3_8_3_4_wgs_144_tpt_144_halfLds_dp_ip_CI_unitstride_sbrr_C2R_dirReg
    .private_segment_fixed_size: 0
    .sgpr_count:     23
    .sgpr_spill_count: 0
    .symbol:         fft_rtc_fwd_len1152_factors_4_3_8_3_4_wgs_144_tpt_144_halfLds_dp_ip_CI_unitstride_sbrr_C2R_dirReg.kd
    .uniform_work_group_size: 1
    .uses_dynamic_stack: false
    .vgpr_count:     79
    .vgpr_spill_count: 0
    .wavefront_size: 32
    .workgroup_processor_mode: 1
amdhsa.target:   amdgcn-amd-amdhsa--gfx1030
amdhsa.version:
  - 1
  - 2
...

	.end_amdgpu_metadata
